;; amdgpu-corpus repo=ROCm/rocFFT kind=compiled arch=gfx906 opt=O3
	.text
	.amdgcn_target "amdgcn-amd-amdhsa--gfx906"
	.amdhsa_code_object_version 6
	.protected	fft_rtc_fwd_len1820_factors_10_13_7_2_wgs_182_tpt_182_halfLds_half_ip_CI_unitstride_sbrr_C2R_dirReg ; -- Begin function fft_rtc_fwd_len1820_factors_10_13_7_2_wgs_182_tpt_182_halfLds_half_ip_CI_unitstride_sbrr_C2R_dirReg
	.globl	fft_rtc_fwd_len1820_factors_10_13_7_2_wgs_182_tpt_182_halfLds_half_ip_CI_unitstride_sbrr_C2R_dirReg
	.p2align	8
	.type	fft_rtc_fwd_len1820_factors_10_13_7_2_wgs_182_tpt_182_halfLds_half_ip_CI_unitstride_sbrr_C2R_dirReg,@function
fft_rtc_fwd_len1820_factors_10_13_7_2_wgs_182_tpt_182_halfLds_half_ip_CI_unitstride_sbrr_C2R_dirReg: ; @fft_rtc_fwd_len1820_factors_10_13_7_2_wgs_182_tpt_182_halfLds_half_ip_CI_unitstride_sbrr_C2R_dirReg
; %bb.0:
	s_load_dwordx2 s[12:13], s[4:5], 0x50
	s_load_dwordx4 s[8:11], s[4:5], 0x0
	s_load_dwordx2 s[2:3], s[4:5], 0x18
	v_mul_u32_u24_e32 v1, 0x169, v0
	v_add_u32_sdwa v5, s6, v1 dst_sel:DWORD dst_unused:UNUSED_PAD src0_sel:DWORD src1_sel:WORD_1
	v_mov_b32_e32 v3, 0
	s_waitcnt lgkmcnt(0)
	v_cmp_lt_u64_e64 s[0:1], s[10:11], 2
	v_mov_b32_e32 v1, 0
	v_mov_b32_e32 v6, v3
	s_and_b64 vcc, exec, s[0:1]
	v_mov_b32_e32 v2, 0
	s_cbranch_vccnz .LBB0_8
; %bb.1:
	s_load_dwordx2 s[0:1], s[4:5], 0x10
	s_add_u32 s6, s2, 8
	s_addc_u32 s7, s3, 0
	v_mov_b32_e32 v1, 0
	v_mov_b32_e32 v2, 0
	s_waitcnt lgkmcnt(0)
	s_add_u32 s14, s0, 8
	s_addc_u32 s15, s1, 0
	s_mov_b64 s[16:17], 1
.LBB0_2:                                ; =>This Inner Loop Header: Depth=1
	s_load_dwordx2 s[18:19], s[14:15], 0x0
                                        ; implicit-def: $vgpr7_vgpr8
	s_waitcnt lgkmcnt(0)
	v_or_b32_e32 v4, s19, v6
	v_cmp_ne_u64_e32 vcc, 0, v[3:4]
	s_and_saveexec_b64 s[0:1], vcc
	s_xor_b64 s[20:21], exec, s[0:1]
	s_cbranch_execz .LBB0_4
; %bb.3:                                ;   in Loop: Header=BB0_2 Depth=1
	v_cvt_f32_u32_e32 v4, s18
	v_cvt_f32_u32_e32 v7, s19
	s_sub_u32 s0, 0, s18
	s_subb_u32 s1, 0, s19
	v_mac_f32_e32 v4, 0x4f800000, v7
	v_rcp_f32_e32 v4, v4
	v_mul_f32_e32 v4, 0x5f7ffffc, v4
	v_mul_f32_e32 v7, 0x2f800000, v4
	v_trunc_f32_e32 v7, v7
	v_mac_f32_e32 v4, 0xcf800000, v7
	v_cvt_u32_f32_e32 v7, v7
	v_cvt_u32_f32_e32 v4, v4
	v_mul_lo_u32 v8, s0, v7
	v_mul_hi_u32 v9, s0, v4
	v_mul_lo_u32 v11, s1, v4
	v_mul_lo_u32 v10, s0, v4
	v_add_u32_e32 v8, v9, v8
	v_add_u32_e32 v8, v8, v11
	v_mul_hi_u32 v9, v4, v10
	v_mul_lo_u32 v11, v4, v8
	v_mul_hi_u32 v13, v4, v8
	v_mul_hi_u32 v12, v7, v10
	v_mul_lo_u32 v10, v7, v10
	v_mul_hi_u32 v14, v7, v8
	v_add_co_u32_e32 v9, vcc, v9, v11
	v_addc_co_u32_e32 v11, vcc, 0, v13, vcc
	v_mul_lo_u32 v8, v7, v8
	v_add_co_u32_e32 v9, vcc, v9, v10
	v_addc_co_u32_e32 v9, vcc, v11, v12, vcc
	v_addc_co_u32_e32 v10, vcc, 0, v14, vcc
	v_add_co_u32_e32 v8, vcc, v9, v8
	v_addc_co_u32_e32 v9, vcc, 0, v10, vcc
	v_add_co_u32_e32 v4, vcc, v4, v8
	v_addc_co_u32_e32 v7, vcc, v7, v9, vcc
	v_mul_lo_u32 v8, s0, v7
	v_mul_hi_u32 v9, s0, v4
	v_mul_lo_u32 v10, s1, v4
	v_mul_lo_u32 v11, s0, v4
	v_add_u32_e32 v8, v9, v8
	v_add_u32_e32 v8, v8, v10
	v_mul_lo_u32 v12, v4, v8
	v_mul_hi_u32 v13, v4, v11
	v_mul_hi_u32 v14, v4, v8
	;; [unrolled: 1-line block ×3, first 2 shown]
	v_mul_lo_u32 v11, v7, v11
	v_mul_hi_u32 v9, v7, v8
	v_add_co_u32_e32 v12, vcc, v13, v12
	v_addc_co_u32_e32 v13, vcc, 0, v14, vcc
	v_mul_lo_u32 v8, v7, v8
	v_add_co_u32_e32 v11, vcc, v12, v11
	v_addc_co_u32_e32 v10, vcc, v13, v10, vcc
	v_addc_co_u32_e32 v9, vcc, 0, v9, vcc
	v_add_co_u32_e32 v8, vcc, v10, v8
	v_addc_co_u32_e32 v9, vcc, 0, v9, vcc
	v_add_co_u32_e32 v4, vcc, v4, v8
	v_addc_co_u32_e32 v9, vcc, v7, v9, vcc
	v_mad_u64_u32 v[7:8], s[0:1], v5, v9, 0
	v_mul_hi_u32 v10, v5, v4
	v_add_co_u32_e32 v11, vcc, v10, v7
	v_addc_co_u32_e32 v12, vcc, 0, v8, vcc
	v_mad_u64_u32 v[7:8], s[0:1], v6, v4, 0
	v_mad_u64_u32 v[9:10], s[0:1], v6, v9, 0
	v_add_co_u32_e32 v4, vcc, v11, v7
	v_addc_co_u32_e32 v4, vcc, v12, v8, vcc
	v_addc_co_u32_e32 v7, vcc, 0, v10, vcc
	v_add_co_u32_e32 v4, vcc, v4, v9
	v_addc_co_u32_e32 v9, vcc, 0, v7, vcc
	v_mul_lo_u32 v10, s19, v4
	v_mul_lo_u32 v11, s18, v9
	v_mad_u64_u32 v[7:8], s[0:1], s18, v4, 0
	v_add3_u32 v8, v8, v11, v10
	v_sub_u32_e32 v10, v6, v8
	v_mov_b32_e32 v11, s19
	v_sub_co_u32_e32 v7, vcc, v5, v7
	v_subb_co_u32_e64 v10, s[0:1], v10, v11, vcc
	v_subrev_co_u32_e64 v11, s[0:1], s18, v7
	v_subbrev_co_u32_e64 v10, s[0:1], 0, v10, s[0:1]
	v_cmp_le_u32_e64 s[0:1], s19, v10
	v_cndmask_b32_e64 v12, 0, -1, s[0:1]
	v_cmp_le_u32_e64 s[0:1], s18, v11
	v_cndmask_b32_e64 v11, 0, -1, s[0:1]
	v_cmp_eq_u32_e64 s[0:1], s19, v10
	v_cndmask_b32_e64 v10, v12, v11, s[0:1]
	v_add_co_u32_e64 v11, s[0:1], 2, v4
	v_addc_co_u32_e64 v12, s[0:1], 0, v9, s[0:1]
	v_add_co_u32_e64 v13, s[0:1], 1, v4
	v_addc_co_u32_e64 v14, s[0:1], 0, v9, s[0:1]
	v_subb_co_u32_e32 v8, vcc, v6, v8, vcc
	v_cmp_ne_u32_e64 s[0:1], 0, v10
	v_cmp_le_u32_e32 vcc, s19, v8
	v_cndmask_b32_e64 v10, v14, v12, s[0:1]
	v_cndmask_b32_e64 v12, 0, -1, vcc
	v_cmp_le_u32_e32 vcc, s18, v7
	v_cndmask_b32_e64 v7, 0, -1, vcc
	v_cmp_eq_u32_e32 vcc, s19, v8
	v_cndmask_b32_e32 v7, v12, v7, vcc
	v_cmp_ne_u32_e32 vcc, 0, v7
	v_cndmask_b32_e64 v7, v13, v11, s[0:1]
	v_cndmask_b32_e32 v8, v9, v10, vcc
	v_cndmask_b32_e32 v7, v4, v7, vcc
.LBB0_4:                                ;   in Loop: Header=BB0_2 Depth=1
	s_andn2_saveexec_b64 s[0:1], s[20:21]
	s_cbranch_execz .LBB0_6
; %bb.5:                                ;   in Loop: Header=BB0_2 Depth=1
	v_cvt_f32_u32_e32 v4, s18
	s_sub_i32 s20, 0, s18
	v_rcp_iflag_f32_e32 v4, v4
	v_mul_f32_e32 v4, 0x4f7ffffe, v4
	v_cvt_u32_f32_e32 v4, v4
	v_mul_lo_u32 v7, s20, v4
	v_mul_hi_u32 v7, v4, v7
	v_add_u32_e32 v4, v4, v7
	v_mul_hi_u32 v4, v5, v4
	v_mul_lo_u32 v7, v4, s18
	v_add_u32_e32 v8, 1, v4
	v_sub_u32_e32 v7, v5, v7
	v_subrev_u32_e32 v9, s18, v7
	v_cmp_le_u32_e32 vcc, s18, v7
	v_cndmask_b32_e32 v7, v7, v9, vcc
	v_cndmask_b32_e32 v4, v4, v8, vcc
	v_add_u32_e32 v8, 1, v4
	v_cmp_le_u32_e32 vcc, s18, v7
	v_cndmask_b32_e32 v7, v4, v8, vcc
	v_mov_b32_e32 v8, v3
.LBB0_6:                                ;   in Loop: Header=BB0_2 Depth=1
	s_or_b64 exec, exec, s[0:1]
	v_mul_lo_u32 v4, v8, s18
	v_mul_lo_u32 v11, v7, s19
	v_mad_u64_u32 v[9:10], s[0:1], v7, s18, 0
	s_load_dwordx2 s[0:1], s[6:7], 0x0
	s_add_u32 s16, s16, 1
	v_add3_u32 v4, v10, v11, v4
	v_sub_co_u32_e32 v5, vcc, v5, v9
	v_subb_co_u32_e32 v4, vcc, v6, v4, vcc
	s_waitcnt lgkmcnt(0)
	v_mul_lo_u32 v4, s0, v4
	v_mul_lo_u32 v6, s1, v5
	v_mad_u64_u32 v[1:2], s[0:1], s0, v5, v[1:2]
	s_addc_u32 s17, s17, 0
	s_add_u32 s6, s6, 8
	v_add3_u32 v2, v6, v2, v4
	v_mov_b32_e32 v4, s10
	v_mov_b32_e32 v5, s11
	s_addc_u32 s7, s7, 0
	v_cmp_ge_u64_e32 vcc, s[16:17], v[4:5]
	s_add_u32 s14, s14, 8
	s_addc_u32 s15, s15, 0
	s_cbranch_vccnz .LBB0_9
; %bb.7:                                ;   in Loop: Header=BB0_2 Depth=1
	v_mov_b32_e32 v5, v7
	v_mov_b32_e32 v6, v8
	s_branch .LBB0_2
.LBB0_8:
	v_mov_b32_e32 v8, v6
	v_mov_b32_e32 v7, v5
.LBB0_9:
	s_lshl_b64 s[0:1], s[10:11], 3
	s_add_u32 s0, s2, s0
	s_addc_u32 s1, s3, s1
	s_load_dwordx2 s[2:3], s[0:1], 0x0
	s_load_dwordx2 s[6:7], s[4:5], 0x20
	s_waitcnt lgkmcnt(0)
	v_mad_u64_u32 v[1:2], s[0:1], s2, v7, v[1:2]
	s_mov_b32 s0, 0x1681682
	v_mul_lo_u32 v3, s2, v8
	v_mul_lo_u32 v4, s3, v7
	v_mul_hi_u32 v5, v0, s0
	v_cmp_gt_u64_e64 s[0:1], s[6:7], v[7:8]
	v_add3_u32 v2, v4, v2, v3
	v_mul_u32_u24_e32 v3, 0xb6, v5
	v_sub_u32_e32 v4, v0, v3
	v_lshlrev_b64 v[2:3], 2, v[1:2]
	v_mov_b32_e32 v5, 0
	v_mov_b32_e32 v0, v4
	s_and_saveexec_b64 s[2:3], s[0:1]
	s_cbranch_execz .LBB0_13
; %bb.10:
	v_mov_b32_e32 v0, s13
	v_add_co_u32_e32 v1, vcc, s12, v2
	v_lshlrev_b64 v[6:7], 2, v[4:5]
	v_addc_co_u32_e32 v0, vcc, v0, v3, vcc
	v_add_co_u32_e32 v6, vcc, v1, v6
	v_addc_co_u32_e32 v7, vcc, v0, v7, vcc
	s_movk_i32 s4, 0x1000
	v_add_co_u32_e32 v8, vcc, s4, v6
	v_addc_co_u32_e32 v9, vcc, 0, v7, vcc
	global_load_dword v10, v[6:7], off
	global_load_dword v11, v[6:7], off offset:728
	global_load_dword v12, v[6:7], off offset:1456
	;; [unrolled: 1-line block ×9, first 2 shown]
	v_lshl_add_u32 v6, v4, 2, 0
	s_movk_i32 s4, 0xb5
	v_add_u32_e32 v7, 0x500, v6
	v_add_u32_e32 v8, 0xb00, v6
	v_add_u32_e32 v9, 0x1000, v6
	v_add_u32_e32 v20, 0x1600, v6
	v_cmp_eq_u32_e32 vcc, s4, v4
	s_waitcnt vmcnt(8)
	ds_write2_b32 v6, v10, v11 offset1:182
	s_waitcnt vmcnt(6)
	ds_write2_b32 v7, v12, v13 offset0:44 offset1:226
	s_waitcnt vmcnt(4)
	ds_write2_b32 v8, v14, v15 offset0:24 offset1:206
	;; [unrolled: 2-line block ×4, first 2 shown]
	v_mov_b32_e32 v6, v5
	v_mov_b32_e32 v5, v4
	s_and_saveexec_b64 s[4:5], vcc
	s_cbranch_execz .LBB0_12
; %bb.11:
	v_add_co_u32_e32 v4, vcc, 0x1000, v1
	v_addc_co_u32_e32 v5, vcc, 0, v0, vcc
	global_load_dword v0, v[4:5], off offset:3184
	v_mov_b32_e32 v5, 0xb5
	v_mov_b32_e32 v1, 0
	;; [unrolled: 1-line block ×4, first 2 shown]
	s_waitcnt vmcnt(0)
	ds_write_b32 v1, v0 offset:7280
.LBB0_12:
	s_or_b64 exec, exec, s[4:5]
	v_mov_b32_e32 v0, v4
	v_mov_b32_e32 v4, v5
	;; [unrolled: 1-line block ×3, first 2 shown]
.LBB0_13:
	s_or_b64 exec, exec, s[2:3]
	v_lshlrev_b32_e32 v1, 2, v0
	v_add_u32_e32 v20, 0, v1
	s_waitcnt lgkmcnt(0)
	s_barrier
	v_sub_u32_e32 v8, 0, v1
	ds_read_u16 v1, v20
	ds_read_u16 v6, v8 offset:7280
	s_add_u32 s4, s8, 0x1c48
	v_lshlrev_b64 v[4:5], 2, v[4:5]
	s_addc_u32 s5, s9, 0
	v_cmp_ne_u32_e32 vcc, 0, v0
	s_waitcnt lgkmcnt(0)
	v_add_f16_e32 v9, v6, v1
	v_sub_f16_e32 v10, v1, v6
	s_and_saveexec_b64 s[2:3], vcc
	s_xor_b64 s[2:3], exec, s[2:3]
	s_cbranch_execz .LBB0_15
; %bb.14:
	v_mov_b32_e32 v7, s5
	v_add_co_u32_e32 v9, vcc, s4, v4
	v_addc_co_u32_e32 v10, vcc, v7, v5, vcc
	global_load_dword v7, v[9:10], off
	ds_read_u16 v9, v8 offset:7282
	ds_read_u16 v10, v20 offset:2
	v_add_f16_e32 v11, v6, v1
	v_sub_f16_e32 v1, v1, v6
	s_waitcnt lgkmcnt(0)
	v_add_f16_e32 v6, v9, v10
	v_sub_f16_e32 v9, v10, v9
	s_waitcnt vmcnt(0)
	v_lshrrev_b32_e32 v10, 16, v7
	v_fma_f16 v12, v1, v10, v11
	v_fma_f16 v13, v6, v10, v9
	v_fma_f16 v11, -v1, v10, v11
	v_fma_f16 v14, v6, v10, -v9
	v_fma_f16 v9, -v7, v6, v12
	v_fma_f16 v10, v1, v7, v13
	v_fma_f16 v6, v7, v6, v11
	;; [unrolled: 1-line block ×3, first 2 shown]
	v_pack_b32_f16 v1, v6, v1
	ds_write_b32 v8, v1 offset:7280
.LBB0_15:
	s_andn2_saveexec_b64 s[2:3], s[2:3]
	s_cbranch_execz .LBB0_17
; %bb.16:
	v_mov_b32_e32 v1, 0
	ds_read_b32 v6, v1 offset:3640
	s_mov_b32 s6, 0xc0004000
	s_waitcnt lgkmcnt(0)
	v_pk_mul_f16 v6, v6, s6
	ds_write_b32 v1, v6 offset:3640
.LBB0_17:
	s_or_b64 exec, exec, s[2:3]
	v_mov_b32_e32 v1, 0
	v_lshlrev_b64 v[6:7], 2, v[0:1]
	v_mov_b32_e32 v1, s5
	v_add_co_u32_e32 v11, vcc, s4, v6
	v_addc_co_u32_e32 v12, vcc, v1, v7, vcc
	global_load_dword v1, v[11:12], off offset:728
	global_load_dword v13, v[11:12], off offset:1456
	;; [unrolled: 1-line block ×4, first 2 shown]
	s_mov_b32 s2, 0x5040100
	v_perm_b32 v9, v10, v9, s2
	ds_write_b32 v20, v9
	ds_read_b32 v9, v20 offset:728
	ds_read_b32 v10, v8 offset:6552
	s_movk_i32 s2, 0x3b9c
	s_mov_b32 s5, 0xbb9c
	s_movk_i32 s3, 0x38b4
	s_mov_b32 s6, 0xb8b4
	s_waitcnt lgkmcnt(0)
	v_add_f16_e32 v11, v9, v10
	v_add_f16_sdwa v12, v10, v9 dst_sel:DWORD dst_unused:UNUSED_PAD src0_sel:WORD_1 src1_sel:WORD_1
	v_sub_f16_e32 v16, v9, v10
	v_sub_f16_sdwa v9, v9, v10 dst_sel:DWORD dst_unused:UNUSED_PAD src0_sel:WORD_1 src1_sel:WORD_1
	s_movk_i32 s4, 0x34f2
	s_movk_i32 s7, 0x3a79
	s_waitcnt vmcnt(3)
	v_lshrrev_b32_e32 v10, 16, v1
	v_fma_f16 v17, v16, v10, v11
	v_fma_f16 v18, v12, v10, v9
	v_fma_f16 v11, -v16, v10, v11
	v_fma_f16 v9, v12, v10, -v9
	v_fma_f16 v10, -v1, v12, v17
	v_fma_f16 v17, v16, v1, v18
	v_fma_f16 v11, v1, v12, v11
	;; [unrolled: 1-line block ×3, first 2 shown]
	v_pack_b32_f16 v9, v10, v17
	v_pack_b32_f16 v1, v11, v1
	ds_write_b32 v20, v9 offset:728
	ds_write_b32 v8, v1 offset:6552
	ds_read_b32 v1, v20 offset:1456
	ds_read_b32 v9, v8 offset:5824
	s_waitcnt vmcnt(2)
	v_lshrrev_b32_e32 v10, 16, v13
	s_waitcnt lgkmcnt(0)
	v_add_f16_e32 v11, v1, v9
	v_add_f16_sdwa v12, v9, v1 dst_sel:DWORD dst_unused:UNUSED_PAD src0_sel:WORD_1 src1_sel:WORD_1
	v_sub_f16_e32 v16, v1, v9
	v_sub_f16_sdwa v1, v1, v9 dst_sel:DWORD dst_unused:UNUSED_PAD src0_sel:WORD_1 src1_sel:WORD_1
	v_fma_f16 v9, v16, v10, v11
	v_fma_f16 v17, v12, v10, v1
	v_fma_f16 v11, -v16, v10, v11
	v_fma_f16 v1, v12, v10, -v1
	v_fma_f16 v9, -v13, v12, v9
	v_fma_f16 v10, v16, v13, v17
	v_fma_f16 v11, v13, v12, v11
	;; [unrolled: 1-line block ×3, first 2 shown]
	v_pack_b32_f16 v9, v9, v10
	v_pack_b32_f16 v1, v11, v1
	ds_write_b32 v20, v9 offset:1456
	ds_write_b32 v8, v1 offset:5824
	ds_read_b32 v1, v20 offset:2184
	ds_read_b32 v9, v8 offset:5096
	s_waitcnt vmcnt(1)
	v_lshrrev_b32_e32 v10, 16, v14
	s_waitcnt lgkmcnt(0)
	v_add_f16_e32 v11, v1, v9
	v_add_f16_sdwa v12, v9, v1 dst_sel:DWORD dst_unused:UNUSED_PAD src0_sel:WORD_1 src1_sel:WORD_1
	v_sub_f16_e32 v13, v1, v9
	v_sub_f16_sdwa v1, v1, v9 dst_sel:DWORD dst_unused:UNUSED_PAD src0_sel:WORD_1 src1_sel:WORD_1
	v_fma_f16 v9, v13, v10, v11
	v_fma_f16 v16, v12, v10, v1
	v_fma_f16 v11, -v13, v10, v11
	v_fma_f16 v1, v12, v10, -v1
	v_fma_f16 v9, -v14, v12, v9
	v_fma_f16 v10, v13, v14, v16
	v_fma_f16 v11, v14, v12, v11
	;; [unrolled: 1-line block ×3, first 2 shown]
	v_pack_b32_f16 v9, v9, v10
	v_pack_b32_f16 v1, v11, v1
	ds_write_b32 v20, v9 offset:2184
	ds_write_b32 v8, v1 offset:5096
	ds_read_b32 v9, v20 offset:2912
	ds_read_b32 v10, v8 offset:4368
	s_waitcnt vmcnt(0)
	v_lshrrev_b32_e32 v13, 16, v15
	v_add_u32_e32 v11, 0xb00, v20
	v_add_u32_e32 v12, 0x500, v20
	;; [unrolled: 1-line block ×3, first 2 shown]
	s_waitcnt lgkmcnt(0)
	v_add_f16_e32 v14, v9, v10
	v_add_f16_sdwa v16, v10, v9 dst_sel:DWORD dst_unused:UNUSED_PAD src0_sel:WORD_1 src1_sel:WORD_1
	v_sub_f16_e32 v17, v9, v10
	v_sub_f16_sdwa v9, v9, v10 dst_sel:DWORD dst_unused:UNUSED_PAD src0_sel:WORD_1 src1_sel:WORD_1
	v_fma_f16 v10, v17, v13, v14
	v_fma_f16 v18, v16, v13, v9
	v_fma_f16 v14, -v17, v13, v14
	v_fma_f16 v9, v16, v13, -v9
	v_fma_f16 v10, -v15, v16, v10
	v_fma_f16 v13, v17, v15, v18
	v_fma_f16 v14, v15, v16, v14
	;; [unrolled: 1-line block ×3, first 2 shown]
	v_pack_b32_f16 v10, v10, v13
	v_pack_b32_f16 v9, v14, v9
	v_add_u32_e32 v16, 0x1600, v20
	ds_write_b32 v20, v10 offset:2912
	ds_write_b32 v8, v9 offset:4368
	s_waitcnt lgkmcnt(0)
	s_barrier
	s_barrier
	ds_read2_b32 v[8:9], v11 offset0:24 offset1:206
	ds_read2_b32 v[10:11], v1 offset0:68 offset1:250
	;; [unrolled: 1-line block ×3, first 2 shown]
	ds_read2_b32 v[14:15], v20 offset1:182
	ds_read2_b32 v[16:17], v16 offset0:48 offset1:230
	s_waitcnt lgkmcnt(0)
	s_barrier
	v_sub_f16_e32 v31, v13, v9
	v_pk_add_f16 v24, v15, v13
	v_pk_add_f16 v23, v14, v12
	v_add_f16_e32 v29, v9, v11
	v_sub_f16_sdwa v30, v9, v11 dst_sel:DWORD dst_unused:UNUSED_PAD src0_sel:WORD_1 src1_sel:WORD_1
	v_sub_f16_e32 v32, v9, v13
	v_add_f16_sdwa v33, v9, v11 dst_sel:DWORD dst_unused:UNUSED_PAD src0_sel:WORD_1 src1_sel:WORD_1
	v_sub_f16_e32 v34, v9, v11
	v_sub_f16_sdwa v35, v13, v9 dst_sel:DWORD dst_unused:UNUSED_PAD src0_sel:WORD_1 src1_sel:WORD_1
	v_sub_f16_sdwa v36, v9, v13 dst_sel:DWORD dst_unused:UNUSED_PAD src0_sel:WORD_1 src1_sel:WORD_1
	v_pk_add_f16 v9, v24, v9
	v_add_f16_e32 v18, v8, v10
	v_sub_f16_sdwa v19, v8, v10 dst_sel:DWORD dst_unused:UNUSED_PAD src0_sel:WORD_1 src1_sel:WORD_1
	v_sub_f16_e32 v21, v12, v8
	v_sub_f16_e32 v22, v8, v12
	v_add_f16_sdwa v26, v8, v10 dst_sel:DWORD dst_unused:UNUSED_PAD src0_sel:WORD_1 src1_sel:WORD_1
	v_sub_f16_e32 v27, v8, v10
	v_sub_f16_sdwa v28, v12, v8 dst_sel:DWORD dst_unused:UNUSED_PAD src0_sel:WORD_1 src1_sel:WORD_1
	v_sub_f16_sdwa v25, v8, v12 dst_sel:DWORD dst_unused:UNUSED_PAD src0_sel:WORD_1 src1_sel:WORD_1
	v_pk_add_f16 v8, v23, v8
	v_add_f16_e32 v24, v12, v16
	v_pk_add_f16 v9, v9, v11
	v_pk_add_f16 v8, v8, v10
	;; [unrolled: 1-line block ×3, first 2 shown]
	v_fma_f16 v9, v24, -0.5, v14
	v_sub_f16_sdwa v23, v12, v16 dst_sel:DWORD dst_unused:UNUSED_PAD src0_sel:WORD_1 src1_sel:WORD_1
	v_sub_f16_e32 v37, v12, v16
	v_add_f16_sdwa v12, v12, v16 dst_sel:DWORD dst_unused:UNUSED_PAD src0_sel:WORD_1 src1_sel:WORD_1
	v_sub_f16_e32 v41, v16, v10
	v_sub_f16_e32 v42, v10, v16
	v_sub_f16_sdwa v43, v16, v10 dst_sel:DWORD dst_unused:UNUSED_PAD src0_sel:WORD_1 src1_sel:WORD_1
	v_sub_f16_sdwa v10, v10, v16 dst_sel:DWORD dst_unused:UNUSED_PAD src0_sel:WORD_1 src1_sel:WORD_1
	v_pk_add_f16 v47, v8, v16
	v_fma_f16 v16, v19, s5, v9
	v_fma_f16 v9, v19, s2, v9
	v_add_f16_e32 v8, v22, v42
	v_fma_f16 v16, v23, s3, v16
	v_fma_f16 v9, v23, s6, v9
	v_lshrrev_b32_e32 v24, 16, v14
	v_fma_f16 v16, v8, s4, v16
	v_fma_f16 v8, v8, s4, v9
	v_add_f16_e32 v9, v25, v10
	v_fma_f16 v10, v12, -0.5, v24
	v_fma_f16 v12, v27, s2, v10
	v_fma_f16 v10, v27, s5, v10
	v_add_f16_e32 v39, v13, v17
	v_fma_f16 v10, v37, s3, v10
	v_fma_f16 v12, v37, s6, v12
	;; [unrolled: 1-line block ×3, first 2 shown]
	v_fma_f16 v10, v39, -0.5, v15
	v_sub_f16_sdwa v38, v13, v17 dst_sel:DWORD dst_unused:UNUSED_PAD src0_sel:WORD_1 src1_sel:WORD_1
	v_sub_f16_e32 v45, v11, v17
	v_fma_f16 v42, v9, s4, v12
	v_fma_f16 v12, v30, s5, v10
	;; [unrolled: 1-line block ×3, first 2 shown]
	v_sub_f16_e32 v40, v13, v17
	v_add_f16_sdwa v13, v13, v17 dst_sel:DWORD dst_unused:UNUSED_PAD src0_sel:WORD_1 src1_sel:WORD_1
	v_sub_f16_e32 v44, v17, v11
	v_sub_f16_sdwa v46, v17, v11 dst_sel:DWORD dst_unused:UNUSED_PAD src0_sel:WORD_1 src1_sel:WORD_1
	v_sub_f16_sdwa v11, v11, v17 dst_sel:DWORD dst_unused:UNUSED_PAD src0_sel:WORD_1 src1_sel:WORD_1
	v_add_f16_e32 v9, v32, v45
	v_fma_f16 v12, v38, s3, v12
	v_fma_f16 v10, v38, s6, v10
	v_fma_f16 v17, v29, -0.5, v15
	v_lshrrev_b32_e32 v15, 16, v15
	v_fma_f16 v12, v9, s4, v12
	v_fma_f16 v9, v9, s4, v10
	v_add_f16_e32 v10, v36, v11
	v_fma_f16 v11, v13, -0.5, v15
	v_fma_f16 v13, v34, s2, v11
	v_fma_f16 v13, v40, s6, v13
	;; [unrolled: 1-line block ×6, first 2 shown]
	v_mul_f16_e32 v11, 0x3b9c, v13
	v_fma_f16 v14, v18, -0.5, v14
	v_fma_f16 v18, v12, s4, v11
	v_mul_f16_e32 v11, 0xbb9c, v12
	v_fma_f16 v29, v13, s4, v11
	v_mul_f16_e32 v11, 0x34f2, v9
	v_fma_f16 v12, v10, s2, -v11
	v_mul_f16_e32 v10, 0x34f2, v10
	v_fma_f16 v32, v9, s5, -v10
	v_add_f16_e32 v10, v16, v18
	v_add_f16_e32 v11, v8, v12
	;; [unrolled: 1-line block ×4, first 2 shown]
	v_mad_u32_u24 v36, v0, 36, v20
	v_pack_b32_f16 v9, v11, v25
	v_pack_b32_f16 v13, v10, v22
	ds_write2_b32 v36, v13, v9 offset0:2 offset1:3
	v_fma_f16 v13, v23, s2, v14
	v_fma_f16 v14, v23, s5, v14
	v_add_f16_e32 v9, v21, v41
	v_fma_f16 v13, v19, s3, v13
	v_fma_f16 v14, v19, s6, v14
	;; [unrolled: 1-line block ×6, first 2 shown]
	v_add_f16_e32 v9, v31, v44
	v_fma_f16 v19, v30, s3, v19
	v_fma_f16 v17, v30, s6, v17
	;; [unrolled: 1-line block ×4, first 2 shown]
	v_fma_f16 v9, v33, -0.5, v15
	v_fma_f16 v17, v40, s5, v9
	v_fma_f16 v9, v40, s2, v9
	v_add_f16_e32 v15, v35, v46
	v_fma_f16 v17, v34, s6, v17
	v_fma_f16 v9, v34, s3, v9
	;; [unrolled: 1-line block ×4, first 2 shown]
	v_mul_f16_e32 v9, 0x3a79, v19
	v_sub_f16_e32 v17, v16, v18
	v_fma_f16 v18, v26, -0.5, v24
	v_mul_f16_e32 v19, 0xb8b4, v19
	v_fma_f16 v9, v23, s3, v9
	v_fma_f16 v19, v23, s7, v19
	;; [unrolled: 1-line block ×3, first 2 shown]
	v_add_f16_e32 v24, v28, v43
	v_fma_f16 v23, v27, s6, v23
	v_fma_f16 v18, v37, s2, v18
	;; [unrolled: 1-line block ×4, first 2 shown]
	v_sub_f16_e32 v16, v13, v9
	v_add_f16_e32 v9, v13, v9
	v_mul_f16_e32 v13, 0x3a79, v21
	v_sub_f16_e32 v29, v42, v29
	v_sub_f16_e32 v28, v23, v19
	v_fma_f16 v18, v24, s4, v18
	v_mul_f16_e32 v24, 0x3a79, v30
	v_fma_f16 v15, v30, s3, -v13
	v_pack_b32_f16 v26, v16, v28
	v_pack_b32_f16 v31, v17, v29
	v_fma_f16 v21, v21, s6, -v24
	v_sub_f16_e32 v12, v8, v12
	v_sub_f16_e32 v13, v14, v15
	ds_write2_b32 v36, v26, v31 offset0:6 offset1:7
	v_sub_f16_e32 v30, v49, v32
	v_sub_f16_e32 v31, v18, v21
	v_pack_b32_f16 v24, v13, v31
	v_pack_b32_f16 v26, v12, v30
	v_add_f16_e32 v23, v23, v19
	v_add_f16_e32 v14, v14, v15
	v_pk_add_f16 v8, v47, v48
	v_pk_add_f16 v15, v47, v48 neg_lo:[0,1] neg_hi:[0,1]
	ds_write2_b32 v36, v26, v24 offset0:8 offset1:9
	v_add_f16_e32 v26, v18, v21
	v_pack_b32_f16 v18, v9, v23
	s_movk_i32 s2, 0x8c
	ds_write2_b32 v36, v8, v18 offset1:1
	v_pack_b32_f16 v18, v14, v26
	v_cmp_gt_u32_e32 vcc, s2, v0
	v_lshrrev_b32_e32 v27, 16, v15
	ds_write2_b32 v36, v18, v15 offset0:4 offset1:5
	s_waitcnt lgkmcnt(0)
	s_barrier
	s_waitcnt lgkmcnt(0)
                                        ; implicit-def: $vgpr35
                                        ; implicit-def: $vgpr47
                                        ; implicit-def: $vgpr36
                                        ; implicit-def: $vgpr32
                                        ; implicit-def: $vgpr19
	s_and_saveexec_b64 s[2:3], vcc
	s_cbranch_execz .LBB0_19
; %bb.18:
	v_add_u32_e32 v12, 0x800, v20
	v_add_u32_e32 v10, 0x400, v20
	ds_read2_b32 v[14:15], v12 offset0:48 offset1:188
	v_add_u32_e32 v16, 0xc00, v20
	ds_read2_b32 v[12:13], v1 offset0:96 offset1:236
	v_add_u32_e32 v1, 0x1500, v20
	ds_read2_b32 v[8:9], v20 offset1:140
	ds_read2_b32 v[10:11], v10 offset0:24 offset1:164
	ds_read2_b32 v[18:19], v1 offset0:56 offset1:196
	;; [unrolled: 1-line block ×3, first 2 shown]
	ds_read_b32 v36, v20 offset:6720
	s_waitcnt lgkmcnt(5)
	v_lshrrev_b32_e32 v30, 16, v12
	v_lshrrev_b32_e32 v31, 16, v13
	s_waitcnt lgkmcnt(2)
	v_lshrrev_b32_e32 v32, 16, v18
	v_lshrrev_b32_e32 v35, 16, v19
	;; [unrolled: 3-line block ×3, first 2 shown]
	v_lshrrev_b32_e32 v22, 16, v10
	v_lshrrev_b32_e32 v25, 16, v11
	;; [unrolled: 1-line block ×6, first 2 shown]
.LBB0_19:
	s_or_b64 exec, exec, s[2:3]
	s_movk_i32 s2, 0xcd
	v_mul_lo_u16_sdwa v1, v0, s2 dst_sel:DWORD dst_unused:UNUSED_PAD src0_sel:BYTE_0 src1_sel:DWORD
	v_lshrrev_b16_e32 v1, 11, v1
	v_mul_lo_u16_e32 v21, 10, v1
	v_sub_u16_e32 v21, v0, v21
	v_mov_b32_e32 v24, 12
	v_mul_u32_u24_sdwa v24, v21, v24 dst_sel:DWORD dst_unused:UNUSED_PAD src0_sel:BYTE_0 src1_sel:DWORD
	v_lshlrev_b32_e32 v24, 2, v24
	global_load_dwordx4 v[37:40], v24, s[8:9]
	global_load_dwordx4 v[42:45], v24, s[8:9] offset:16
	global_load_dwordx4 v[48:51], v24, s[8:9] offset:32
	s_movk_i32 s3, 0x3b15
	s_movk_i32 s2, 0x388b
	s_mov_b32 s4, 0xb5ac
	s_movk_i32 s5, 0x2fb7
	s_mov_b32 s7, 0xbbc4
	s_mov_b32 s6, 0xb9fd
	s_waitcnt vmcnt(0)
	s_barrier
	v_mul_f16_sdwa v24, v22, v38 dst_sel:DWORD dst_unused:UNUSED_PAD src0_sel:DWORD src1_sel:WORD_1
	v_mul_f16_sdwa v41, v10, v38 dst_sel:DWORD dst_unused:UNUSED_PAD src0_sel:DWORD src1_sel:WORD_1
	;; [unrolled: 1-line block ×14, first 2 shown]
	v_fma_f16 v33, v10, v38, -v24
	v_fma_f16 v23, v23, v37, v52
	v_fma_f16 v24, v22, v38, v41
	;; [unrolled: 1-line block ×3, first 2 shown]
	v_fma_f16 v41, v9, v37, -v53
	v_fma_f16 v46, v36, v51, -v70
	v_fma_f16 v36, v47, v51, v71
	v_mul_f16_sdwa v54, v26, v40 dst_sel:DWORD dst_unused:UNUSED_PAD src0_sel:DWORD src1_sel:WORD_1
	v_mul_f16_sdwa v55, v14, v40 dst_sel:DWORD dst_unused:UNUSED_PAD src0_sel:DWORD src1_sel:WORD_1
	;; [unrolled: 1-line block ×6, first 2 shown]
	v_fma_f16 v38, v15, v42, -v56
	v_fma_f16 v27, v27, v42, v57
	v_fma_f16 v30, v30, v45, v63
	v_fma_f16 v42, v12, v45, -v62
	v_fma_f16 v45, v19, v50, -v68
	v_fma_f16 v35, v35, v50, v69
	v_sub_f16_e32 v9, v41, v46
	v_sub_f16_e32 v10, v23, v36
	v_mul_f16_sdwa v58, v28, v43 dst_sel:DWORD dst_unused:UNUSED_PAD src0_sel:DWORD src1_sel:WORD_1
	v_mul_f16_sdwa v59, v16, v43 dst_sel:DWORD dst_unused:UNUSED_PAD src0_sel:DWORD src1_sel:WORD_1
	;; [unrolled: 1-line block ×4, first 2 shown]
	v_fma_f16 v34, v11, v39, -v34
	v_fma_f16 v26, v26, v40, v55
	v_fma_f16 v37, v14, v40, -v54
	v_fma_f16 v40, v17, v44, -v60
	v_fma_f16 v29, v29, v44, v61
	v_fma_f16 v44, v18, v49, -v66
	v_fma_f16 v32, v32, v49, v67
	v_add_f16_e32 v81, v41, v46
	v_add_f16_e32 v82, v23, v36
	v_sub_f16_e32 v11, v33, v45
	v_sub_f16_e32 v12, v24, v35
	v_mul_f16_e32 v47, 0xb770, v10
	v_mul_f16_e32 v49, 0xb770, v9
	;; [unrolled: 1-line block ×3, first 2 shown]
	v_fma_f16 v39, v16, v43, -v58
	v_fma_f16 v28, v28, v43, v59
	v_fma_f16 v43, v13, v48, -v64
	v_fma_f16 v31, v31, v48, v65
	v_add_f16_e32 v77, v33, v45
	v_add_f16_e32 v78, v24, v35
	v_mul_f16_e32 v48, 0xba95, v12
	v_mul_f16_e32 v50, 0xba95, v11
	v_mul_f16_e32 v52, 0xbb7b, v12
	v_fma_f16 v13, v81, s3, v47
	v_fma_f16 v15, v82, s3, -v49
	v_fma_f16 v17, v81, s2, v51
	v_fma_f16 v14, v77, s2, v48
	v_fma_f16 v16, v78, s2, -v50
	v_fma_f16 v18, v77, s4, v52
	v_add_f16_e32 v13, v8, v13
	v_add_f16_sdwa v15, v8, v15 dst_sel:DWORD dst_unused:UNUSED_PAD src0_sel:WORD_1 src1_sel:DWORD
	v_add_f16_e32 v17, v8, v17
	v_mul_f16_e32 v55, 0xbbf1, v10
	v_mul_f16_e32 v53, 0xba95, v9
	v_add_f16_e32 v13, v14, v13
	v_add_f16_e32 v14, v16, v15
	v_add_f16_e32 v15, v18, v17
	v_fma_f16 v17, v81, s5, v55
	v_mul_f16_e32 v56, 0xb3a8, v12
	v_mul_f16_e32 v54, 0xbb7b, v11
	v_fma_f16 v19, v82, s2, -v53
	v_add_f16_e32 v17, v8, v17
	v_fma_f16 v18, v77, s7, v56
	v_mul_f16_e32 v58, 0xbbf1, v9
	v_fma_f16 v22, v78, s4, -v54
	v_add_f16_sdwa v19, v8, v19 dst_sel:DWORD dst_unused:UNUSED_PAD src0_sel:WORD_1 src1_sel:DWORD
	v_add_f16_e32 v17, v18, v17
	v_fma_f16 v18, v82, s5, -v58
	v_mul_f16_e32 v59, 0xb3a8, v11
	v_add_f16_e32 v16, v22, v19
	v_add_f16_sdwa v18, v8, v18 dst_sel:DWORD dst_unused:UNUSED_PAD src0_sel:WORD_1 src1_sel:DWORD
	v_fma_f16 v19, v78, s7, -v59
	v_mul_f16_e32 v61, 0xbb7b, v10
	v_add_f16_e32 v18, v19, v18
	v_fma_f16 v19, v81, s4, v61
	v_mul_f16_e32 v63, 0x394e, v12
	v_add_f16_e32 v19, v8, v19
	v_fma_f16 v22, v77, s6, v63
	v_mul_f16_e32 v66, 0xbb7b, v9
	v_add_f16_e32 v19, v22, v19
	v_fma_f16 v22, v82, s4, -v66
	v_mul_f16_e32 v67, 0x394e, v11
	v_add_f16_sdwa v22, v8, v22 dst_sel:DWORD dst_unused:UNUSED_PAD src0_sel:WORD_1 src1_sel:DWORD
	v_fma_f16 v57, v78, s6, -v67
	v_mul_f16_e32 v70, 0xb94e, v10
	v_add_f16_e32 v22, v57, v22
	v_fma_f16 v57, v81, s6, v70
	v_mul_f16_e32 v71, 0x3bf1, v12
	v_mul_f16_e32 v89, 0xb3a8, v9
	v_add_f16_e32 v57, v8, v57
	v_fma_f16 v60, v77, s5, v71
	v_mul_f16_e32 v74, 0xb94e, v9
	v_fma_f16 v9, v82, s7, -v89
	v_mul_f16_e32 v92, 0x3770, v11
	v_add_f16_e32 v64, v60, v57
	v_fma_f16 v57, v82, s6, -v74
	v_mul_f16_e32 v75, 0x3bf1, v11
	v_mul_f16_e32 v83, 0xb3a8, v10
	v_add_f16_sdwa v9, v8, v9 dst_sel:DWORD dst_unused:UNUSED_PAD src0_sel:WORD_1 src1_sel:DWORD
	v_fma_f16 v11, v78, s3, -v92
	v_add_f16_sdwa v57, v8, v57 dst_sel:DWORD dst_unused:UNUSED_PAD src0_sel:WORD_1 src1_sel:DWORD
	v_fma_f16 v60, v78, s5, -v75
	v_fma_f16 v10, v81, s7, v83
	v_mul_f16_e32 v84, 0x3770, v12
	v_add_f16_e32 v9, v11, v9
	v_sub_f16_e32 v11, v25, v32
	v_add_f16_e32 v69, v60, v57
	v_add_f16_e32 v10, v8, v10
	v_fma_f16 v12, v77, s3, v84
	v_add_f16_e32 v101, v34, v44
	v_mul_f16_e32 v57, 0xbbf1, v11
	v_add_f16_e32 v10, v12, v10
	v_fma_f16 v12, v101, s5, v57
	v_add_f16_e32 v12, v12, v13
	v_sub_f16_e32 v13, v34, v44
	v_add_f16_e32 v106, v25, v32
	v_mul_f16_e32 v60, 0xbbf1, v13
	v_fma_f16 v62, v106, s5, -v60
	v_add_f16_e32 v14, v62, v14
	v_mul_f16_e32 v62, 0xb3a8, v11
	v_fma_f16 v65, v101, s7, v62
	v_add_f16_e32 v15, v65, v15
	v_mul_f16_e32 v65, 0xb3a8, v13
	v_fma_f16 v68, v106, s7, -v65
	v_add_f16_e32 v16, v68, v16
	v_mul_f16_e32 v68, 0x3b7b, v11
	v_fma_f16 v72, v101, s4, v68
	v_mul_f16_e32 v73, 0x3b7b, v13
	v_add_f16_e32 v17, v72, v17
	v_fma_f16 v72, v106, s4, -v73
	v_mul_f16_e32 v79, 0x3770, v11
	v_add_f16_e32 v18, v72, v18
	v_fma_f16 v72, v101, s3, v79
	v_mul_f16_e32 v87, 0x3770, v13
	v_mul_f16_e32 v99, 0xb94e, v11
	v_add_f16_e32 v19, v72, v19
	v_fma_f16 v72, v106, s3, -v87
	v_mul_f16_e32 v90, 0xba95, v11
	v_fma_f16 v11, v101, s6, v99
	v_mul_f16_e32 v105, 0xb94e, v13
	v_add_f16_e32 v22, v72, v22
	v_fma_f16 v72, v101, s2, v90
	v_mul_f16_e32 v96, 0xba95, v13
	v_add_f16_e32 v10, v11, v10
	v_fma_f16 v11, v106, s6, -v105
	v_add_f16_e32 v76, v72, v64
	v_fma_f16 v64, v106, s2, -v96
	v_add_f16_e32 v9, v11, v9
	v_sub_f16_e32 v11, v26, v31
	v_add_f16_e32 v86, v64, v69
	v_add_f16_e32 v113, v37, v43
	v_mul_f16_e32 v64, 0xbb7b, v11
	v_fma_f16 v13, v113, s4, v64
	v_add_f16_e32 v12, v13, v12
	v_sub_f16_e32 v13, v37, v43
	v_add_f16_e32 v114, v26, v31
	v_mul_f16_e32 v69, 0xbb7b, v13
	v_fma_f16 v72, v114, s4, -v69
	v_add_f16_e32 v14, v72, v14
	v_mul_f16_e32 v72, 0x394e, v11
	v_fma_f16 v80, v113, s6, v72
	v_add_f16_e32 v15, v80, v15
	v_mul_f16_e32 v80, 0x394e, v13
	v_fma_f16 v85, v114, s6, -v80
	v_add_f16_e32 v16, v85, v16
	v_mul_f16_e32 v85, 0x3770, v11
	v_fma_f16 v88, v113, s3, v85
	v_mul_f16_e32 v91, 0x3770, v13
	v_add_f16_e32 v17, v88, v17
	v_fma_f16 v88, v114, s3, -v91
	v_mul_f16_e32 v94, 0xbbf1, v11
	v_add_f16_e32 v18, v88, v18
	v_fma_f16 v88, v113, s5, v94
	v_mul_f16_e32 v100, 0xbbf1, v13
	v_mul_f16_e32 v111, 0x3a95, v11
	v_add_f16_e32 v19, v88, v19
	v_fma_f16 v88, v114, s5, -v100
	v_mul_f16_e32 v103, 0x33a8, v11
	v_fma_f16 v11, v113, s2, v111
	v_mul_f16_e32 v117, 0x3a95, v13
	v_add_f16_e32 v22, v88, v22
	v_fma_f16 v88, v113, s7, v103
	v_mul_f16_e32 v109, 0x33a8, v13
	v_add_f16_e32 v10, v11, v10
	v_fma_f16 v11, v114, s2, -v117
	v_add_f16_e32 v93, v88, v76
	v_fma_f16 v76, v114, s7, -v109
	v_add_f16_e32 v9, v11, v9
	v_sub_f16_e32 v11, v27, v30
	v_add_f16_e32 v98, v76, v86
	v_add_f16_e32 v120, v38, v42
	v_mul_f16_e32 v76, 0xb94e, v11
	v_fma_f16 v13, v120, s6, v76
	v_add_f16_e32 v12, v13, v12
	v_sub_f16_e32 v13, v38, v42
	v_add_f16_e32 v123, v27, v30
	v_mul_f16_e32 v86, 0xb94e, v13
	v_fma_f16 v88, v123, s6, -v86
	v_add_f16_e32 v14, v88, v14
	v_mul_f16_e32 v88, 0x3bf1, v11
	v_fma_f16 v95, v120, s5, v88
	v_add_f16_e32 v15, v95, v15
	v_mul_f16_e32 v95, 0x3bf1, v13
	v_fma_f16 v97, v123, s5, -v95
	v_add_f16_e32 v16, v97, v16
	v_mul_f16_e32 v97, 0xba95, v11
	v_fma_f16 v102, v120, s2, v97
	v_mul_f16_e32 v104, 0xba95, v13
	v_add_f16_e32 v17, v102, v17
	v_fma_f16 v102, v123, s2, -v104
	v_mul_f16_e32 v107, 0x33a8, v11
	v_add_f16_e32 v18, v102, v18
	v_fma_f16 v102, v120, s7, v107
	v_mul_f16_e32 v112, 0x33a8, v13
	v_mul_f16_e32 v121, 0xbb7b, v11
	v_add_f16_e32 v19, v102, v19
	v_fma_f16 v102, v123, s7, -v112
	v_mul_f16_e32 v115, 0x3770, v11
	v_fma_f16 v11, v120, s4, v121
	v_mul_f16_e32 v125, 0xbb7b, v13
	v_add_f16_e32 v22, v102, v22
	v_fma_f16 v102, v120, s3, v115
	v_mul_f16_e32 v119, 0x3770, v13
	v_add_f16_e32 v10, v11, v10
	v_fma_f16 v11, v123, s4, -v125
	v_add_f16_e32 v127, v102, v93
	v_fma_f16 v93, v123, s3, -v119
	v_add_f16_e32 v131, v11, v9
	v_sub_f16_e32 v9, v28, v29
	v_add_f16_e32 v129, v93, v98
	v_add_f16_e32 v126, v39, v40
	v_mul_f16_e32 v93, 0xb3a8, v9
	v_sub_f16_e32 v130, v39, v40
	v_fma_f16 v11, v126, s7, v93
	v_add_f16_e32 v128, v28, v29
	v_mul_f16_e32 v98, 0xb3a8, v130
	v_add_f16_e32 v11, v11, v12
	v_fma_f16 v12, v128, s7, -v98
	v_mul_f16_e32 v102, 0x3770, v9
	v_mul_f16_e32 v108, 0x3770, v130
	v_add_f16_e32 v13, v12, v14
	v_fma_f16 v12, v126, s3, v102
	v_fma_f16 v14, v128, s3, -v108
	v_mul_f16_e32 v110, 0xb94e, v9
	v_add_f16_e32 v12, v12, v15
	v_add_f16_e32 v15, v14, v16
	v_fma_f16 v14, v126, s6, v110
	v_mul_f16_e32 v118, 0x3a95, v9
	v_add_f16_e32 v14, v14, v17
	v_mul_f16_e32 v116, 0xb94e, v130
	v_fma_f16 v17, v126, s2, v118
	v_mul_f16_e32 v122, 0x3a95, v130
	v_fma_f16 v16, v128, s6, -v116
	v_add_f16_e32 v19, v17, v19
	v_fma_f16 v17, v128, s2, -v122
	v_mul_f16_e32 v124, 0xbb7b, v9
	v_add_f16_e32 v16, v16, v18
	v_add_f16_e32 v18, v17, v22
	v_fma_f16 v17, v126, s4, v124
	v_add_f16_e32 v17, v17, v127
	v_mul_f16_e32 v127, 0xbb7b, v130
	v_fma_f16 v22, v128, s4, -v127
	v_add_f16_e32 v22, v22, v129
	v_mul_f16_e32 v129, 0x3bf1, v9
	v_fma_f16 v9, v126, s5, v129
	v_mul_f16_e32 v130, 0x3bf1, v130
	v_add_f16_e32 v9, v9, v10
	v_fma_f16 v10, v128, s5, -v130
	v_add_f16_e32 v10, v10, v131
	s_and_saveexec_b64 s[2:3], vcc
	s_cbranch_execz .LBB0_21
; %bb.20:
	v_mul_f16_e32 v131, 0x3b15, v81
	v_mul_f16_e32 v132, 0x3b15, v82
	;; [unrolled: 1-line block ×12, first 2 shown]
	v_add_f16_e32 v82, v89, v82
	v_sub_f16_e32 v81, v81, v83
	v_add_f16_e32 v74, v74, v140
	v_sub_f16_e32 v70, v139, v70
	;; [unrolled: 2-line block ×6, first 2 shown]
	v_add_f16_sdwa v82, v8, v82 dst_sel:DWORD dst_unused:UNUSED_PAD src0_sel:WORD_1 src1_sel:DWORD
	v_add_f16_e32 v81, v8, v81
	v_add_f16_sdwa v74, v8, v74 dst_sel:DWORD dst_unused:UNUSED_PAD src0_sel:WORD_1 src1_sel:DWORD
	v_add_f16_e32 v70, v8, v70
	v_add_f16_sdwa v66, v8, v66 dst_sel:DWORD dst_unused:UNUSED_PAD src0_sel:WORD_1 src1_sel:DWORD
	v_add_f16_e32 v61, v8, v61
	v_add_f16_sdwa v58, v8, v58 dst_sel:DWORD dst_unused:UNUSED_PAD src0_sel:WORD_1 src1_sel:DWORD
	v_add_f16_e32 v55, v8, v55
	v_add_f16_sdwa v53, v8, v53 dst_sel:DWORD dst_unused:UNUSED_PAD src0_sel:WORD_1 src1_sel:DWORD
	v_add_f16_e32 v51, v8, v51
	v_add_f16_sdwa v49, v8, v49 dst_sel:DWORD dst_unused:UNUSED_PAD src0_sel:WORD_1 src1_sel:DWORD
	v_add_f16_e32 v47, v8, v47
	v_add_f16_e32 v41, v8, v41
	v_add_f16_sdwa v8, v8, v23 dst_sel:DWORD dst_unused:UNUSED_PAD src0_sel:WORD_1 src1_sel:DWORD
	v_add_f16_e32 v33, v41, v33
	v_add_f16_e32 v8, v8, v24
	;; [unrolled: 1-line block ×8, first 2 shown]
	v_mul_f16_e32 v141, 0x388b, v77
	v_mul_f16_e32 v142, 0x388b, v78
	v_add_f16_e32 v33, v33, v39
	v_add_f16_e32 v8, v8, v28
	v_mul_f16_e32 v143, 0xb5ac, v77
	v_mul_f16_e32 v144, 0xb5ac, v78
	;; [unrolled: 1-line block ×6, first 2 shown]
	v_add_f16_e32 v50, v50, v142
	v_sub_f16_e32 v48, v141, v48
	v_add_f16_e32 v33, v33, v40
	v_add_f16_e32 v8, v8, v29
	v_mul_f16_e32 v147, 0xb9fd, v77
	v_mul_f16_e32 v148, 0xb9fd, v78
	;; [unrolled: 1-line block ×10, first 2 shown]
	v_add_f16_e32 v59, v59, v146
	v_sub_f16_e32 v56, v145, v56
	v_add_f16_e32 v54, v54, v144
	v_sub_f16_e32 v52, v143, v52
	v_add_f16_e32 v49, v50, v49
	v_add_f16_e32 v50, v60, v152
	;; [unrolled: 1-line block ×3, first 2 shown]
	v_sub_f16_e32 v48, v151, v57
	v_add_f16_e32 v33, v33, v42
	v_add_f16_e32 v8, v8, v30
	v_mul_f16_e32 v77, 0x3b15, v77
	v_mul_f16_e32 v78, 0x3b15, v78
	;; [unrolled: 1-line block ×12, first 2 shown]
	v_add_f16_e32 v75, v75, v150
	v_sub_f16_e32 v71, v149, v71
	v_add_f16_e32 v67, v67, v148
	v_sub_f16_e32 v63, v147, v63
	v_add_f16_e32 v58, v59, v58
	v_add_f16_e32 v59, v73, v156
	v_add_f16_e32 v55, v56, v55
	v_sub_f16_e32 v56, v155, v68
	v_add_f16_e32 v53, v54, v53
	v_add_f16_e32 v54, v65, v154
	;; [unrolled: 4-line block ×4, first 2 shown]
	v_mul_f16_e32 v101, 0xb9fd, v101
	v_mul_f16_e32 v106, 0xb9fd, v106
	;; [unrolled: 1-line block ×12, first 2 shown]
	v_add_f16_e32 v78, v92, v78
	v_sub_f16_e32 v77, v77, v84
	v_add_f16_e32 v74, v75, v74
	v_add_f16_e32 v75, v96, v160
	v_add_f16_e32 v70, v71, v70
	v_sub_f16_e32 v71, v159, v90
	v_add_f16_e32 v66, v67, v66
	v_add_f16_e32 v67, v87, v158
	;; [unrolled: 4-line block ×6, first 2 shown]
	v_mul_f16_e32 v113, 0x388b, v113
	v_mul_f16_e32 v114, 0x388b, v114
	;; [unrolled: 1-line block ×10, first 2 shown]
	v_add_f16_e32 v78, v78, v82
	v_add_f16_e32 v82, v105, v106
	v_add_f16_e32 v77, v77, v81
	v_sub_f16_e32 v81, v101, v99
	v_add_f16_e32 v74, v75, v74
	v_add_f16_e32 v75, v109, v170
	v_add_f16_e32 v70, v71, v70
	v_sub_f16_e32 v71, v169, v103
	v_add_f16_e32 v66, v67, v66
	v_add_f16_e32 v67, v100, v168
	v_add_f16_e32 v61, v63, v61
	v_sub_f16_e32 v63, v167, v94
	v_add_f16_e32 v58, v59, v58
	v_add_f16_e32 v59, v104, v176
	v_add_f16_e32 v55, v56, v55
	v_sub_f16_e32 v56, v175, v97
	v_add_f16_e32 v53, v54, v53
	v_add_f16_e32 v54, v95, v174
	v_add_f16_e32 v51, v52, v51
	v_sub_f16_e32 v52, v173, v88
	v_add_f16_e32 v49, v50, v49
	v_add_f16_e32 v50, v98, v182
	v_add_f16_e32 v47, v48, v47
	v_sub_f16_e32 v48, v181, v93
	v_add_f16_e32 v33, v33, v45
	v_add_f16_e32 v8, v8, v35
	v_mov_b32_e32 v23, 2
	v_mul_f16_e32 v120, 0xb5ac, v120
	v_mul_f16_e32 v123, 0xb5ac, v123
	;; [unrolled: 1-line block ×6, first 2 shown]
	v_add_f16_e32 v78, v82, v78
	v_add_f16_e32 v82, v117, v114
	v_add_f16_e32 v77, v81, v77
	v_sub_f16_e32 v81, v113, v111
	v_add_f16_e32 v74, v75, v74
	v_add_f16_e32 v75, v119, v180
	v_add_f16_e32 v70, v71, v70
	v_sub_f16_e32 v71, v179, v115
	v_add_f16_e32 v66, v67, v66
	v_add_f16_e32 v67, v112, v178
	v_add_f16_e32 v61, v63, v61
	v_sub_f16_e32 v63, v177, v107
	v_add_f16_e32 v58, v59, v58
	v_add_f16_e32 v59, v116, v186
	v_add_f16_e32 v55, v56, v55
	v_sub_f16_e32 v56, v185, v110
	v_add_f16_e32 v53, v54, v53
	v_add_f16_e32 v54, v108, v184
	v_add_f16_e32 v51, v52, v51
	v_sub_f16_e32 v52, v183, v102
	v_add_f16_e32 v49, v50, v49
	v_add_f16_e32 v47, v48, v47
	;; [unrolled: 1-line block ×4, first 2 shown]
	v_mul_u32_u24_e32 v1, 0x208, v1
	v_lshlrev_b32_sdwa v21, v23, v21 dst_sel:DWORD dst_unused:UNUSED_PAD src0_sel:DWORD src1_sel:BYTE_0
	v_mul_f16_e32 v126, 0x2fb7, v126
	v_mul_f16_e32 v128, 0x2fb7, v128
	v_add_f16_e32 v78, v82, v78
	v_add_f16_e32 v82, v125, v123
	v_add_f16_e32 v77, v81, v77
	v_sub_f16_e32 v81, v120, v121
	v_add_f16_e32 v74, v75, v74
	v_add_f16_e32 v75, v127, v190
	v_add_f16_e32 v70, v71, v70
	v_sub_f16_e32 v71, v189, v124
	;; [unrolled: 4-line block ×3, first 2 shown]
	v_add_f16_e32 v58, v59, v58
	v_add_f16_e32 v55, v56, v55
	;; [unrolled: 1-line block ×4, first 2 shown]
	v_add3_u32 v1, 0, v1, v21
	v_pack_b32_f16 v8, v33, v8
	v_pack_b32_f16 v21, v47, v49
	v_add_f16_e32 v78, v82, v78
	v_add_f16_e32 v82, v130, v128
	;; [unrolled: 1-line block ×3, first 2 shown]
	v_sub_f16_e32 v81, v126, v129
	v_add_f16_e32 v74, v75, v74
	v_add_f16_e32 v70, v71, v70
	;; [unrolled: 1-line block ×4, first 2 shown]
	ds_write2_b32 v1, v8, v21 offset1:10
	v_pack_b32_f16 v8, v51, v53
	v_pack_b32_f16 v21, v55, v58
	v_add_f16_e32 v78, v82, v78
	v_add_f16_e32 v77, v81, v77
	ds_write2_b32 v1, v8, v21 offset0:20 offset1:30
	v_pack_b32_f16 v8, v61, v66
	v_pack_b32_f16 v21, v70, v74
	s_mov_b32 s4, 0x5040100
	ds_write2_b32 v1, v8, v21 offset0:40 offset1:50
	v_pack_b32_f16 v8, v77, v78
	v_perm_b32 v21, v10, v9, s4
	ds_write2_b32 v1, v8, v21 offset0:60 offset1:70
	v_perm_b32 v8, v22, v17, s4
	v_perm_b32 v21, v18, v19, s4
	ds_write2_b32 v1, v8, v21 offset0:80 offset1:90
	v_perm_b32 v8, v16, v14, s4
	;; [unrolled: 3-line block ×3, first 2 shown]
	ds_write_b32 v1, v8 offset:480
.LBB0_21:
	s_or_b64 exec, exec, s[2:3]
	s_waitcnt lgkmcnt(0)
	s_barrier
	ds_read_b32 v21, v20
	ds_read_b32 v28, v20 offset:1040
	ds_read_b32 v27, v20 offset:2080
	;; [unrolled: 1-line block ×6, first 2 shown]
	s_movk_i32 s2, 0x4e
	v_cmp_gt_u32_e32 vcc, s2, v0
                                        ; implicit-def: $vgpr8
                                        ; implicit-def: $vgpr1
	s_and_saveexec_b64 s[2:3], vcc
	s_cbranch_execz .LBB0_23
; %bb.22:
	ds_read_b32 v9, v20 offset:728
	ds_read_b32 v17, v20 offset:1768
	;; [unrolled: 1-line block ×6, first 2 shown]
	ds_read_u16 v18, v20 offset:2810
	ds_read_b32 v19, v20 offset:2808
	s_waitcnt lgkmcnt(7)
	v_lshrrev_b32_e32 v10, 16, v9
	s_waitcnt lgkmcnt(5)
	v_lshrrev_b32_e32 v16, 16, v14
	;; [unrolled: 2-line block ×5, first 2 shown]
	v_lshrrev_b32_e32 v22, 16, v17
.LBB0_23:
	s_or_b64 exec, exec, s[2:3]
	s_movk_i32 s2, 0x82
	v_add_u32_e32 v29, 0xffffff7e, v0
	v_cmp_gt_u32_e64 s[2:3], s2, v0
	v_cndmask_b32_e64 v37, v29, v0, s[2:3]
	v_mul_i32_i24_e32 v29, 6, v37
	v_mov_b32_e32 v30, 0
	v_lshlrev_b64 v[29:30], 2, v[29:30]
	v_mov_b32_e32 v31, s9
	v_add_co_u32_e64 v33, s[2:3], s8, v29
	v_addc_co_u32_e64 v34, s[2:3], v31, v30, s[2:3]
	global_load_dwordx4 v[29:32], v[33:34], off offset:480
	global_load_dwordx2 v[35:36], v[33:34], off offset:496
	s_waitcnt lgkmcnt(5)
	v_lshrrev_b32_e32 v33, 16, v28
	s_waitcnt lgkmcnt(4)
	v_lshrrev_b32_e32 v34, 16, v27
	;; [unrolled: 2-line block ×4, first 2 shown]
	v_lshrrev_b32_e32 v38, 16, v26
	v_lshrrev_b32_e32 v39, 16, v25
	s_movk_i32 s7, 0x2b26
	s_movk_i32 s5, 0x3b00
	s_mov_b32 s6, 0xbcab
	s_movk_i32 s10, 0x39e0
	s_mov_b32 s14, 0xb9e0
	;; [unrolled: 2-line block ×3, first 2 shown]
	s_movk_i32 s11, 0x370e
	s_movk_i32 s2, 0x81
	v_cmp_lt_u32_e64 s[2:3], s2, v0
	s_waitcnt vmcnt(0)
	s_barrier
	s_mov_b32 s4, 0xffff
	v_mul_f16_sdwa v42, v29, v33 dst_sel:DWORD dst_unused:UNUSED_PAD src0_sel:WORD_1 src1_sel:DWORD
	v_mul_f16_sdwa v43, v29, v28 dst_sel:DWORD dst_unused:UNUSED_PAD src0_sel:WORD_1 src1_sel:DWORD
	;; [unrolled: 1-line block ×12, first 2 shown]
	v_fma_f16 v28, v29, v28, -v42
	v_fma_f16 v29, v29, v33, v43
	v_fma_f16 v27, v30, v27, -v44
	v_fma_f16 v30, v30, v34, v45
	;; [unrolled: 2-line block ×6, first 2 shown]
	v_add_f16_e32 v35, v28, v23
	v_add_f16_e32 v36, v29, v34
	v_sub_f16_e32 v23, v28, v23
	v_sub_f16_e32 v28, v29, v34
	v_add_f16_e32 v29, v27, v24
	v_add_f16_e32 v34, v30, v33
	v_sub_f16_e32 v24, v27, v24
	v_sub_f16_e32 v27, v30, v33
	;; [unrolled: 4-line block ×4, first 2 shown]
	v_sub_f16_e32 v35, v35, v30
	v_sub_f16_e32 v36, v36, v33
	v_sub_f16_e32 v29, v30, v29
	v_sub_f16_e32 v34, v33, v34
	v_add_f16_e32 v40, v25, v24
	v_sub_f16_e32 v42, v25, v24
	v_sub_f16_e32 v24, v24, v23
	v_add_f16_e32 v30, v30, v31
	v_add_f16_e32 v31, v33, v32
	v_add_f16_e32 v41, v26, v27
	v_sub_f16_e32 v43, v26, v27
	v_sub_f16_e32 v25, v23, v25
	v_sub_f16_e32 v27, v27, v28
	v_add_f16_e32 v23, v40, v23
	v_mul_f16_e32 v32, 0x3a52, v35
	v_mul_f16_e32 v33, 0x3a52, v36
	;; [unrolled: 1-line block ×6, first 2 shown]
	v_add_f16_e32 v44, v30, v21
	v_add_f16_sdwa v21, v31, v21 dst_sel:DWORD dst_unused:UNUSED_PAD src0_sel:DWORD src1_sel:WORD_1
	v_sub_f16_e32 v26, v28, v26
	v_add_f16_e32 v28, v41, v28
	v_mul_f16_e32 v41, 0xb846, v43
	v_mul_f16_e32 v43, 0x3b00, v27
	v_fma_f16 v29, v29, s7, v32
	v_fma_f16 v30, v30, s6, v44
	;; [unrolled: 1-line block ×4, first 2 shown]
	v_fma_f16 v35, v38, s10, -v35
	v_fma_f16 v36, v39, s10, -v36
	;; [unrolled: 1-line block ×4, first 2 shown]
	v_fma_f16 v38, v25, s15, v40
	v_fma_f16 v24, v24, s5, -v40
	v_fma_f16 v25, v25, s16, -v42
	v_fma_f16 v39, v26, s15, v41
	v_fma_f16 v26, v26, s16, -v43
	v_add_f16_e32 v29, v29, v30
	v_add_f16_e32 v34, v34, v31
	;; [unrolled: 1-line block ×6, first 2 shown]
	v_fma_f16 v32, v23, s11, v38
	v_fma_f16 v24, v23, s11, v24
	v_fma_f16 v23, v23, s11, v25
	v_fma_f16 v27, v27, s5, -v41
	v_fma_f16 v33, v28, s11, v39
	v_fma_f16 v25, v28, s11, v26
	v_sub_f16_e32 v39, v31, v23
	v_add_f16_e32 v23, v23, v31
	v_mov_b32_e32 v31, 0xe38
	v_fma_f16 v27, v28, s11, v27
	v_add_f16_e32 v26, v33, v29
	v_sub_f16_e32 v28, v34, v32
	v_add_f16_e32 v38, v25, v30
	v_sub_f16_e32 v25, v30, v25
	v_add_f16_e32 v30, v32, v34
	v_cndmask_b32_e64 v31, 0, v31, s[2:3]
	v_lshlrev_b32_e32 v32, 2, v37
	v_sub_f16_e32 v40, v35, v27
	v_add_f16_e32 v41, v24, v36
	v_add3_u32 v31, 0, v31, v32
	v_pack_b32_f16 v21, v44, v21
	v_pack_b32_f16 v26, v26, v28
	v_add_f16_e32 v27, v27, v35
	v_sub_f16_e32 v24, v36, v24
	ds_write2_b32 v31, v21, v26 offset1:130
	v_pack_b32_f16 v21, v38, v39
	v_pack_b32_f16 v26, v40, v41
	v_add_u32_e32 v28, 0x400, v31
	v_sub_f16_e32 v29, v29, v33
	ds_write2_b32 v28, v21, v26 offset0:4 offset1:134
	v_pack_b32_f16 v21, v27, v24
	v_pack_b32_f16 v23, v25, v23
	v_add_u32_e32 v24, 0x800, v31
	ds_write2_b32 v24, v21, v23 offset0:8 offset1:138
	v_pack_b32_f16 v21, v29, v30
	ds_write_b32 v31, v21 offset:3120
	s_and_saveexec_b64 s[2:3], vcc
	s_cbranch_execz .LBB0_25
; %bb.24:
	v_add_u32_e32 v21, 0xb6, v0
	s_movk_i32 s17, 0xfc1
	v_mul_u32_u24_sdwa v23, v21, s17 dst_sel:DWORD dst_unused:UNUSED_PAD src0_sel:WORD_0 src1_sel:DWORD
	v_lshrrev_b32_e32 v23, 19, v23
	v_mul_lo_u16_e32 v23, 0x82, v23
	v_sub_u16_e32 v21, v21, v23
	v_mul_u32_u24_e32 v23, 6, v21
	v_lshlrev_b32_e32 v29, 2, v23
	global_load_dwordx4 v[23:26], v29, s[8:9] offset:480
	global_load_dwordx2 v[27:28], v29, s[8:9] offset:496
	s_waitcnt vmcnt(1)
	v_mul_f16_sdwa v29, v22, v23 dst_sel:DWORD dst_unused:UNUSED_PAD src0_sel:DWORD src1_sel:WORD_1
	s_waitcnt vmcnt(0)
	v_mul_f16_sdwa v30, v8, v28 dst_sel:DWORD dst_unused:UNUSED_PAD src0_sel:DWORD src1_sel:WORD_1
	v_mul_f16_sdwa v33, v18, v24 dst_sel:DWORD dst_unused:UNUSED_PAD src0_sel:DWORD src1_sel:WORD_1
	;; [unrolled: 1-line block ×11, first 2 shown]
	v_fma_f16 v17, v17, v23, -v29
	v_fma_f16 v1, v1, v28, -v30
	;; [unrolled: 1-line block ×4, first 2 shown]
	v_fma_f16 v8, v8, v28, v35
	v_fma_f16 v22, v22, v23, v36
	v_fma_f16 v13, v13, v27, v39
	v_fma_f16 v18, v18, v24, v40
	v_fma_f16 v12, v12, v26, -v31
	v_fma_f16 v14, v14, v25, -v32
	v_fma_f16 v16, v16, v25, v37
	v_fma_f16 v15, v15, v26, v38
	v_sub_f16_e32 v23, v17, v1
	v_sub_f16_e32 v25, v19, v11
	v_add_f16_e32 v26, v22, v8
	v_add_f16_e32 v28, v18, v13
	;; [unrolled: 1-line block ×4, first 2 shown]
	v_sub_f16_e32 v24, v12, v14
	v_add_f16_e32 v27, v16, v15
	v_add_f16_e32 v12, v14, v12
	v_sub_f16_e32 v8, v22, v8
	v_sub_f16_e32 v14, v15, v16
	;; [unrolled: 1-line block ×3, first 2 shown]
	v_add_f16_e32 v22, v28, v26
	v_add_f16_e32 v30, v11, v1
	v_sub_f16_e32 v15, v23, v24
	v_sub_f16_e32 v16, v24, v25
	v_add_f16_e32 v17, v24, v25
	v_sub_f16_e32 v18, v26, v27
	v_sub_f16_e32 v19, v27, v28
	;; [unrolled: 1-line block ×6, first 2 shown]
	v_add_f16_e32 v14, v14, v13
	v_sub_f16_e32 v25, v25, v23
	v_sub_f16_e32 v1, v11, v1
	;; [unrolled: 1-line block ×3, first 2 shown]
	v_add_f16_e32 v22, v27, v22
	v_add_f16_e32 v12, v12, v30
	v_sub_f16_e32 v26, v28, v26
	v_mul_f16_e32 v13, 0xb846, v16
	v_add_f16_e32 v16, v17, v23
	v_mul_f16_e32 v17, 0x3a52, v18
	v_mul_f16_e32 v18, 0x2b26, v19
	;; [unrolled: 1-line block ×5, first 2 shown]
	v_add_f16_e32 v8, v14, v8
	v_mul_f16_e32 v14, 0x3b00, v25
	v_mul_f16_e32 v28, 0x3b00, v11
	v_add_f16_e32 v10, v10, v22
	v_add_f16_e32 v9, v9, v12
	v_fma_f16 v30, v15, s15, v13
	v_fma_f16 v19, v19, s7, v17
	;; [unrolled: 1-line block ×4, first 2 shown]
	v_fma_f16 v14, v15, s16, -v14
	v_fma_f16 v15, v26, s14, -v17
	;; [unrolled: 1-line block ×4, first 2 shown]
	v_fma_f16 v22, v22, s6, v10
	v_fma_f16 v12, v12, s6, v9
	v_fma_f16 v18, v26, s10, -v18
	v_fma_f16 v13, v25, s5, -v13
	;; [unrolled: 1-line block ×4, first 2 shown]
	v_fma_f16 v28, v16, s11, v30
	v_fma_f16 v30, v8, s11, v32
	;; [unrolled: 1-line block ×3, first 2 shown]
	v_add_f16_e32 v19, v19, v22
	v_add_f16_e32 v29, v29, v12
	;; [unrolled: 1-line block ×4, first 2 shown]
	v_fma_f16 v23, v8, s11, v23
	v_add_f16_e32 v18, v18, v22
	v_fma_f16 v13, v16, s11, v13
	v_fma_f16 v8, v8, s11, v11
	v_add_f16_e32 v1, v1, v12
	v_add_f16_e32 v33, v14, v15
	v_sub_f16_e32 v34, v17, v23
	v_sub_f16_e32 v16, v18, v13
	v_add_f16_e32 v11, v8, v1
	v_add_f16_e32 v12, v13, v18
	v_sub_f16_e32 v1, v1, v8
	v_sub_f16_e32 v8, v15, v14
	v_add_f16_e32 v13, v23, v17
	v_sub_f16_e32 v14, v19, v28
	v_add_f16_e32 v15, v30, v29
	v_lshl_add_u32 v17, v21, 2, 0
	v_pack_b32_f16 v9, v9, v10
	v_pack_b32_f16 v10, v15, v14
	v_add_u32_e32 v14, 0xe00, v17
	ds_write2_b32 v14, v9, v10 offset0:14 offset1:144
	v_pack_b32_f16 v8, v13, v8
	v_pack_b32_f16 v1, v1, v12
	v_add_u32_e32 v9, 0x1200, v17
	v_add_f16_e32 v31, v28, v19
	v_sub_f16_e32 v32, v29, v30
	ds_write2_b32 v9, v8, v1 offset0:18 offset1:148
	v_pack_b32_f16 v1, v11, v16
	v_pack_b32_f16 v8, v34, v33
	v_add_u32_e32 v9, 0x1600, v17
	ds_write2_b32 v9, v1, v8 offset0:22 offset1:152
	v_pack_b32_f16 v1, v32, v31
	ds_write_b32 v17, v1 offset:6760
.LBB0_25:
	s_or_b64 exec, exec, s[2:3]
	v_mov_b32_e32 v1, s9
	v_add_co_u32_e32 v4, vcc, s8, v4
	v_addc_co_u32_e32 v5, vcc, v1, v5, vcc
	v_add_co_u32_e32 v6, vcc, s8, v6
	s_movk_i32 s2, 0x1000
	v_addc_co_u32_e32 v1, vcc, v1, v7, vcc
	s_waitcnt lgkmcnt(0)
	s_barrier
	global_load_dword v14, v[4:5], off offset:3600
	v_add_co_u32_e32 v4, vcc, s2, v6
	v_addc_co_u32_e32 v5, vcc, 0, v1, vcc
	global_load_dword v1, v[4:5], off offset:232
	global_load_dword v15, v[4:5], off offset:960
	global_load_dword v16, v[4:5], off offset:1688
	global_load_dword v17, v[4:5], off offset:2416
	v_add_u32_e32 v18, 0xb00, v20
	ds_read2_b32 v[4:5], v20 offset1:182
	v_add_u32_e32 v19, 0x1000, v20
	v_add_u32_e32 v21, 0x500, v20
	;; [unrolled: 1-line block ×3, first 2 shown]
	ds_read2_b32 v[6:7], v18 offset0:24 offset1:206
	ds_read2_b32 v[8:9], v19 offset0:68 offset1:250
	;; [unrolled: 1-line block ×4, first 2 shown]
	s_waitcnt vmcnt(0) lgkmcnt(0)
	s_barrier
	v_pk_mul_f16 v23, v14, v7 op_sel:[0,1]
	v_pk_fma_f16 v24, v14, v7, v23 op_sel:[0,0,1] op_sel_hi:[1,1,0] neg_lo:[0,0,1] neg_hi:[0,0,1]
	v_pk_fma_f16 v7, v14, v7, v23 op_sel:[0,0,1] op_sel_hi:[1,0,0]
	v_pk_mul_f16 v14, v1, v8 op_sel:[0,1]
	v_pk_mul_f16 v23, v15, v9 op_sel:[0,1]
	;; [unrolled: 1-line block ×4, first 2 shown]
	v_bfi_b32 v7, s4, v24, v7
	v_pk_fma_f16 v24, v1, v8, v14 op_sel:[0,0,1] op_sel_hi:[1,1,0] neg_lo:[0,0,1] neg_hi:[0,0,1]
	v_pk_fma_f16 v1, v1, v8, v14 op_sel:[0,0,1] op_sel_hi:[1,0,0]
	v_pk_fma_f16 v8, v15, v9, v23 op_sel:[0,0,1] op_sel_hi:[1,1,0] neg_lo:[0,0,1] neg_hi:[0,0,1]
	v_pk_fma_f16 v9, v15, v9, v23 op_sel:[0,0,1] op_sel_hi:[1,0,0]
	;; [unrolled: 2-line block ×4, first 2 shown]
	v_bfi_b32 v1, s4, v24, v1
	v_bfi_b32 v8, s4, v8, v9
	;; [unrolled: 1-line block ×4, first 2 shown]
	v_pk_add_f16 v7, v4, v7 neg_lo:[0,1] neg_hi:[0,1]
	v_pk_add_f16 v1, v5, v1 neg_lo:[0,1] neg_hi:[0,1]
	;; [unrolled: 1-line block ×5, first 2 shown]
	v_pk_fma_f16 v4, v4, 2.0, v7 op_sel_hi:[1,0,1] neg_lo:[0,0,1] neg_hi:[0,0,1]
	v_pk_fma_f16 v5, v5, 2.0, v1 op_sel_hi:[1,0,1] neg_lo:[0,0,1] neg_hi:[0,0,1]
	;; [unrolled: 1-line block ×5, first 2 shown]
	ds_write2_b32 v19, v1, v8 offset0:68 offset1:250
	ds_write2_b32 v22, v9, v12 offset0:48 offset1:230
	ds_write2_b32 v20, v4, v5 offset1:182
	ds_write2_b32 v21, v10, v11 offset0:44 offset1:226
	ds_write2_b32 v18, v6, v7 offset0:24 offset1:206
	s_waitcnt lgkmcnt(0)
	s_barrier
	s_and_saveexec_b64 s[2:3], s[0:1]
	s_cbranch_execz .LBB0_27
; %bb.26:
	v_lshl_add_u32 v6, v0, 2, 0
	v_mov_b32_e32 v1, 0
	ds_read2_b32 v[4:5], v6 offset1:182
	v_mov_b32_e32 v7, s13
	v_add_co_u32_e32 v8, vcc, s12, v2
	v_addc_co_u32_e32 v7, vcc, v7, v3, vcc
	v_lshlrev_b64 v[2:3], 2, v[0:1]
	v_add_co_u32_e32 v2, vcc, v8, v2
	v_addc_co_u32_e32 v3, vcc, v7, v3, vcc
	s_waitcnt lgkmcnt(0)
	global_store_dword v[2:3], v4, off
	v_add_u32_e32 v2, 0xb6, v0
	v_mov_b32_e32 v3, v1
	v_lshlrev_b64 v[2:3], 2, v[2:3]
	v_add_u32_e32 v4, 0x500, v6
	v_add_co_u32_e32 v2, vcc, v8, v2
	v_addc_co_u32_e32 v3, vcc, v7, v3, vcc
	global_store_dword v[2:3], v5, off
	v_add_u32_e32 v2, 0x16c, v0
	v_mov_b32_e32 v3, v1
	ds_read2_b32 v[4:5], v4 offset0:44 offset1:226
	v_lshlrev_b64 v[2:3], 2, v[2:3]
	v_add_co_u32_e32 v2, vcc, v8, v2
	v_addc_co_u32_e32 v3, vcc, v7, v3, vcc
	s_waitcnt lgkmcnt(0)
	global_store_dword v[2:3], v4, off
	v_add_u32_e32 v2, 0x222, v0
	v_mov_b32_e32 v3, v1
	v_lshlrev_b64 v[2:3], 2, v[2:3]
	v_add_u32_e32 v4, 0xb00, v6
	v_add_co_u32_e32 v2, vcc, v8, v2
	v_addc_co_u32_e32 v3, vcc, v7, v3, vcc
	global_store_dword v[2:3], v5, off
	v_add_u32_e32 v2, 0x2d8, v0
	v_mov_b32_e32 v3, v1
	ds_read2_b32 v[4:5], v4 offset0:24 offset1:206
	;; [unrolled: 15-line block ×3, first 2 shown]
	v_lshlrev_b64 v[2:3], 2, v[2:3]
	v_add_co_u32_e32 v2, vcc, v8, v2
	v_addc_co_u32_e32 v3, vcc, v7, v3, vcc
	s_waitcnt lgkmcnt(0)
	global_store_dword v[2:3], v4, off
	v_add_u32_e32 v2, 0x4fa, v0
	v_mov_b32_e32 v3, v1
	v_lshlrev_b64 v[2:3], 2, v[2:3]
	v_add_u32_e32 v4, 0x1600, v6
	v_add_co_u32_e32 v2, vcc, v8, v2
	v_addc_co_u32_e32 v3, vcc, v7, v3, vcc
	global_store_dword v[2:3], v5, off
	v_add_u32_e32 v2, 0x5b0, v0
	v_mov_b32_e32 v3, v1
	v_lshlrev_b64 v[2:3], 2, v[2:3]
	ds_read2_b32 v[4:5], v4 offset0:48 offset1:230
	v_add_u32_e32 v0, 0x666, v0
	v_add_co_u32_e32 v2, vcc, v8, v2
	v_lshlrev_b64 v[0:1], 2, v[0:1]
	v_addc_co_u32_e32 v3, vcc, v7, v3, vcc
	v_add_co_u32_e32 v0, vcc, v8, v0
	v_addc_co_u32_e32 v1, vcc, v7, v1, vcc
	s_waitcnt lgkmcnt(0)
	global_store_dword v[2:3], v4, off
	global_store_dword v[0:1], v5, off
.LBB0_27:
	s_endpgm
	.section	.rodata,"a",@progbits
	.p2align	6, 0x0
	.amdhsa_kernel fft_rtc_fwd_len1820_factors_10_13_7_2_wgs_182_tpt_182_halfLds_half_ip_CI_unitstride_sbrr_C2R_dirReg
		.amdhsa_group_segment_fixed_size 0
		.amdhsa_private_segment_fixed_size 0
		.amdhsa_kernarg_size 88
		.amdhsa_user_sgpr_count 6
		.amdhsa_user_sgpr_private_segment_buffer 1
		.amdhsa_user_sgpr_dispatch_ptr 0
		.amdhsa_user_sgpr_queue_ptr 0
		.amdhsa_user_sgpr_kernarg_segment_ptr 1
		.amdhsa_user_sgpr_dispatch_id 0
		.amdhsa_user_sgpr_flat_scratch_init 0
		.amdhsa_user_sgpr_private_segment_size 0
		.amdhsa_uses_dynamic_stack 0
		.amdhsa_system_sgpr_private_segment_wavefront_offset 0
		.amdhsa_system_sgpr_workgroup_id_x 1
		.amdhsa_system_sgpr_workgroup_id_y 0
		.amdhsa_system_sgpr_workgroup_id_z 0
		.amdhsa_system_sgpr_workgroup_info 0
		.amdhsa_system_vgpr_workitem_id 0
		.amdhsa_next_free_vgpr 191
		.amdhsa_next_free_sgpr 22
		.amdhsa_reserve_vcc 1
		.amdhsa_reserve_flat_scratch 0
		.amdhsa_float_round_mode_32 0
		.amdhsa_float_round_mode_16_64 0
		.amdhsa_float_denorm_mode_32 3
		.amdhsa_float_denorm_mode_16_64 3
		.amdhsa_dx10_clamp 1
		.amdhsa_ieee_mode 1
		.amdhsa_fp16_overflow 0
		.amdhsa_exception_fp_ieee_invalid_op 0
		.amdhsa_exception_fp_denorm_src 0
		.amdhsa_exception_fp_ieee_div_zero 0
		.amdhsa_exception_fp_ieee_overflow 0
		.amdhsa_exception_fp_ieee_underflow 0
		.amdhsa_exception_fp_ieee_inexact 0
		.amdhsa_exception_int_div_zero 0
	.end_amdhsa_kernel
	.text
.Lfunc_end0:
	.size	fft_rtc_fwd_len1820_factors_10_13_7_2_wgs_182_tpt_182_halfLds_half_ip_CI_unitstride_sbrr_C2R_dirReg, .Lfunc_end0-fft_rtc_fwd_len1820_factors_10_13_7_2_wgs_182_tpt_182_halfLds_half_ip_CI_unitstride_sbrr_C2R_dirReg
                                        ; -- End function
	.section	.AMDGPU.csdata,"",@progbits
; Kernel info:
; codeLenInByte = 10204
; NumSgprs: 26
; NumVgprs: 191
; ScratchSize: 0
; MemoryBound: 0
; FloatMode: 240
; IeeeMode: 1
; LDSByteSize: 0 bytes/workgroup (compile time only)
; SGPRBlocks: 3
; VGPRBlocks: 47
; NumSGPRsForWavesPerEU: 26
; NumVGPRsForWavesPerEU: 191
; Occupancy: 1
; WaveLimiterHint : 1
; COMPUTE_PGM_RSRC2:SCRATCH_EN: 0
; COMPUTE_PGM_RSRC2:USER_SGPR: 6
; COMPUTE_PGM_RSRC2:TRAP_HANDLER: 0
; COMPUTE_PGM_RSRC2:TGID_X_EN: 1
; COMPUTE_PGM_RSRC2:TGID_Y_EN: 0
; COMPUTE_PGM_RSRC2:TGID_Z_EN: 0
; COMPUTE_PGM_RSRC2:TIDIG_COMP_CNT: 0
	.type	__hip_cuid_ba271a312b929e83,@object ; @__hip_cuid_ba271a312b929e83
	.section	.bss,"aw",@nobits
	.globl	__hip_cuid_ba271a312b929e83
__hip_cuid_ba271a312b929e83:
	.byte	0                               ; 0x0
	.size	__hip_cuid_ba271a312b929e83, 1

	.ident	"AMD clang version 19.0.0git (https://github.com/RadeonOpenCompute/llvm-project roc-6.4.0 25133 c7fe45cf4b819c5991fe208aaa96edf142730f1d)"
	.section	".note.GNU-stack","",@progbits
	.addrsig
	.addrsig_sym __hip_cuid_ba271a312b929e83
	.amdgpu_metadata
---
amdhsa.kernels:
  - .args:
      - .actual_access:  read_only
        .address_space:  global
        .offset:         0
        .size:           8
        .value_kind:     global_buffer
      - .offset:         8
        .size:           8
        .value_kind:     by_value
      - .actual_access:  read_only
        .address_space:  global
        .offset:         16
        .size:           8
        .value_kind:     global_buffer
      - .actual_access:  read_only
        .address_space:  global
        .offset:         24
        .size:           8
        .value_kind:     global_buffer
      - .offset:         32
        .size:           8
        .value_kind:     by_value
      - .actual_access:  read_only
        .address_space:  global
        .offset:         40
        .size:           8
        .value_kind:     global_buffer
      - .actual_access:  read_only
        .address_space:  global
        .offset:         48
        .size:           8
        .value_kind:     global_buffer
      - .offset:         56
        .size:           4
        .value_kind:     by_value
      - .actual_access:  read_only
        .address_space:  global
        .offset:         64
        .size:           8
        .value_kind:     global_buffer
      - .actual_access:  read_only
        .address_space:  global
        .offset:         72
        .size:           8
        .value_kind:     global_buffer
      - .address_space:  global
        .offset:         80
        .size:           8
        .value_kind:     global_buffer
    .group_segment_fixed_size: 0
    .kernarg_segment_align: 8
    .kernarg_segment_size: 88
    .language:       OpenCL C
    .language_version:
      - 2
      - 0
    .max_flat_workgroup_size: 182
    .name:           fft_rtc_fwd_len1820_factors_10_13_7_2_wgs_182_tpt_182_halfLds_half_ip_CI_unitstride_sbrr_C2R_dirReg
    .private_segment_fixed_size: 0
    .sgpr_count:     26
    .sgpr_spill_count: 0
    .symbol:         fft_rtc_fwd_len1820_factors_10_13_7_2_wgs_182_tpt_182_halfLds_half_ip_CI_unitstride_sbrr_C2R_dirReg.kd
    .uniform_work_group_size: 1
    .uses_dynamic_stack: false
    .vgpr_count:     191
    .vgpr_spill_count: 0
    .wavefront_size: 64
amdhsa.target:   amdgcn-amd-amdhsa--gfx906
amdhsa.version:
  - 1
  - 2
...

	.end_amdgpu_metadata
